;; amdgpu-corpus repo=ROCm/rocFFT kind=compiled arch=gfx1201 opt=O3
	.text
	.amdgcn_target "amdgcn-amd-amdhsa--gfx1201"
	.amdhsa_code_object_version 6
	.protected	fft_rtc_back_len1600_factors_10_16_10_wgs_200_tpt_100_halfLds_half_ip_CI_unitstride_sbrr_dirReg ; -- Begin function fft_rtc_back_len1600_factors_10_16_10_wgs_200_tpt_100_halfLds_half_ip_CI_unitstride_sbrr_dirReg
	.globl	fft_rtc_back_len1600_factors_10_16_10_wgs_200_tpt_100_halfLds_half_ip_CI_unitstride_sbrr_dirReg
	.p2align	8
	.type	fft_rtc_back_len1600_factors_10_16_10_wgs_200_tpt_100_halfLds_half_ip_CI_unitstride_sbrr_dirReg,@function
fft_rtc_back_len1600_factors_10_16_10_wgs_200_tpt_100_halfLds_half_ip_CI_unitstride_sbrr_dirReg: ; @fft_rtc_back_len1600_factors_10_16_10_wgs_200_tpt_100_halfLds_half_ip_CI_unitstride_sbrr_dirReg
; %bb.0:
	s_clause 0x2
	s_load_b128 s[4:7], s[0:1], 0x0
	s_load_b64 s[8:9], s[0:1], 0x50
	s_load_b64 s[10:11], s[0:1], 0x18
	v_mul_u32_u24_e32 v1, 0x290, v0
	v_mov_b32_e32 v3, 0
	s_delay_alu instid0(VALU_DEP_2) | instskip(SKIP_2) | instid1(VALU_DEP_4)
	v_lshrrev_b32_e32 v9, 16, v1
	v_mov_b32_e32 v1, 0
	v_mov_b32_e32 v2, 0
	;; [unrolled: 1-line block ×3, first 2 shown]
	s_delay_alu instid0(VALU_DEP_4) | instskip(SKIP_2) | instid1(VALU_DEP_1)
	v_lshl_add_u32 v5, ttmp9, 1, v9
	s_wait_kmcnt 0x0
	v_cmp_lt_u64_e64 s2, s[6:7], 2
	s_and_b32 vcc_lo, exec_lo, s2
	s_cbranch_vccnz .LBB0_8
; %bb.1:
	s_load_b64 s[2:3], s[0:1], 0x10
	v_mov_b32_e32 v1, 0
	v_mov_b32_e32 v2, 0
	s_add_nc_u64 s[12:13], s[10:11], 8
	s_mov_b64 s[14:15], 1
	s_wait_kmcnt 0x0
	s_add_nc_u64 s[16:17], s[2:3], 8
	s_mov_b32 s3, 0
.LBB0_2:                                ; =>This Inner Loop Header: Depth=1
	s_load_b64 s[18:19], s[16:17], 0x0
                                        ; implicit-def: $vgpr7_vgpr8
	s_mov_b32 s2, exec_lo
	s_wait_kmcnt 0x0
	v_or_b32_e32 v4, s19, v6
	s_delay_alu instid0(VALU_DEP_1)
	v_cmpx_ne_u64_e32 0, v[3:4]
	s_wait_alu 0xfffe
	s_xor_b32 s20, exec_lo, s2
	s_cbranch_execz .LBB0_4
; %bb.3:                                ;   in Loop: Header=BB0_2 Depth=1
	s_cvt_f32_u32 s2, s18
	s_cvt_f32_u32 s21, s19
	s_sub_nc_u64 s[24:25], 0, s[18:19]
	s_wait_alu 0xfffe
	s_delay_alu instid0(SALU_CYCLE_1) | instskip(SKIP_1) | instid1(SALU_CYCLE_2)
	s_fmamk_f32 s2, s21, 0x4f800000, s2
	s_wait_alu 0xfffe
	v_s_rcp_f32 s2, s2
	s_delay_alu instid0(TRANS32_DEP_1) | instskip(SKIP_1) | instid1(SALU_CYCLE_2)
	s_mul_f32 s2, s2, 0x5f7ffffc
	s_wait_alu 0xfffe
	s_mul_f32 s21, s2, 0x2f800000
	s_wait_alu 0xfffe
	s_delay_alu instid0(SALU_CYCLE_2) | instskip(SKIP_1) | instid1(SALU_CYCLE_2)
	s_trunc_f32 s21, s21
	s_wait_alu 0xfffe
	s_fmamk_f32 s2, s21, 0xcf800000, s2
	s_cvt_u32_f32 s23, s21
	s_wait_alu 0xfffe
	s_delay_alu instid0(SALU_CYCLE_1) | instskip(SKIP_1) | instid1(SALU_CYCLE_2)
	s_cvt_u32_f32 s22, s2
	s_wait_alu 0xfffe
	s_mul_u64 s[26:27], s[24:25], s[22:23]
	s_wait_alu 0xfffe
	s_mul_hi_u32 s29, s22, s27
	s_mul_i32 s28, s22, s27
	s_mul_hi_u32 s2, s22, s26
	s_mul_i32 s30, s23, s26
	s_wait_alu 0xfffe
	s_add_nc_u64 s[28:29], s[2:3], s[28:29]
	s_mul_hi_u32 s21, s23, s26
	s_mul_hi_u32 s31, s23, s27
	s_add_co_u32 s2, s28, s30
	s_wait_alu 0xfffe
	s_add_co_ci_u32 s2, s29, s21
	s_mul_i32 s26, s23, s27
	s_add_co_ci_u32 s27, s31, 0
	s_wait_alu 0xfffe
	s_add_nc_u64 s[26:27], s[2:3], s[26:27]
	s_wait_alu 0xfffe
	v_add_co_u32 v4, s2, s22, s26
	s_delay_alu instid0(VALU_DEP_1) | instskip(SKIP_1) | instid1(VALU_DEP_1)
	s_cmp_lg_u32 s2, 0
	s_add_co_ci_u32 s23, s23, s27
	v_readfirstlane_b32 s22, v4
	s_wait_alu 0xfffe
	s_delay_alu instid0(VALU_DEP_1)
	s_mul_u64 s[24:25], s[24:25], s[22:23]
	s_wait_alu 0xfffe
	s_mul_hi_u32 s27, s22, s25
	s_mul_i32 s26, s22, s25
	s_mul_hi_u32 s2, s22, s24
	s_mul_i32 s28, s23, s24
	s_wait_alu 0xfffe
	s_add_nc_u64 s[26:27], s[2:3], s[26:27]
	s_mul_hi_u32 s21, s23, s24
	s_mul_hi_u32 s22, s23, s25
	s_wait_alu 0xfffe
	s_add_co_u32 s2, s26, s28
	s_add_co_ci_u32 s2, s27, s21
	s_mul_i32 s24, s23, s25
	s_add_co_ci_u32 s25, s22, 0
	s_wait_alu 0xfffe
	s_add_nc_u64 s[24:25], s[2:3], s[24:25]
	s_wait_alu 0xfffe
	v_add_co_u32 v4, s2, v4, s24
	s_delay_alu instid0(VALU_DEP_1) | instskip(SKIP_1) | instid1(VALU_DEP_1)
	s_cmp_lg_u32 s2, 0
	s_add_co_ci_u32 s2, s23, s25
	v_mul_hi_u32 v14, v5, v4
	s_wait_alu 0xfffe
	v_mad_co_u64_u32 v[7:8], null, v5, s2, 0
	v_mad_co_u64_u32 v[10:11], null, v6, v4, 0
	;; [unrolled: 1-line block ×3, first 2 shown]
	s_delay_alu instid0(VALU_DEP_3) | instskip(SKIP_1) | instid1(VALU_DEP_4)
	v_add_co_u32 v4, vcc_lo, v14, v7
	s_wait_alu 0xfffd
	v_add_co_ci_u32_e32 v7, vcc_lo, 0, v8, vcc_lo
	s_delay_alu instid0(VALU_DEP_2) | instskip(SKIP_1) | instid1(VALU_DEP_2)
	v_add_co_u32 v4, vcc_lo, v4, v10
	s_wait_alu 0xfffd
	v_add_co_ci_u32_e32 v4, vcc_lo, v7, v11, vcc_lo
	s_wait_alu 0xfffd
	v_add_co_ci_u32_e32 v7, vcc_lo, 0, v13, vcc_lo
	s_delay_alu instid0(VALU_DEP_2) | instskip(SKIP_1) | instid1(VALU_DEP_2)
	v_add_co_u32 v4, vcc_lo, v4, v12
	s_wait_alu 0xfffd
	v_add_co_ci_u32_e32 v10, vcc_lo, 0, v7, vcc_lo
	s_delay_alu instid0(VALU_DEP_2) | instskip(SKIP_1) | instid1(VALU_DEP_3)
	v_mul_lo_u32 v11, s19, v4
	v_mad_co_u64_u32 v[7:8], null, s18, v4, 0
	v_mul_lo_u32 v12, s18, v10
	s_delay_alu instid0(VALU_DEP_2) | instskip(NEXT) | instid1(VALU_DEP_2)
	v_sub_co_u32 v7, vcc_lo, v5, v7
	v_add3_u32 v8, v8, v12, v11
	s_delay_alu instid0(VALU_DEP_1) | instskip(SKIP_1) | instid1(VALU_DEP_1)
	v_sub_nc_u32_e32 v11, v6, v8
	s_wait_alu 0xfffd
	v_subrev_co_ci_u32_e64 v11, s2, s19, v11, vcc_lo
	v_add_co_u32 v12, s2, v4, 2
	s_wait_alu 0xf1ff
	v_add_co_ci_u32_e64 v13, s2, 0, v10, s2
	v_sub_co_u32 v14, s2, v7, s18
	v_sub_co_ci_u32_e32 v8, vcc_lo, v6, v8, vcc_lo
	s_wait_alu 0xf1ff
	v_subrev_co_ci_u32_e64 v11, s2, 0, v11, s2
	s_delay_alu instid0(VALU_DEP_3) | instskip(NEXT) | instid1(VALU_DEP_3)
	v_cmp_le_u32_e32 vcc_lo, s18, v14
	v_cmp_eq_u32_e64 s2, s19, v8
	s_wait_alu 0xfffd
	v_cndmask_b32_e64 v14, 0, -1, vcc_lo
	v_cmp_le_u32_e32 vcc_lo, s19, v11
	s_wait_alu 0xfffd
	v_cndmask_b32_e64 v15, 0, -1, vcc_lo
	v_cmp_le_u32_e32 vcc_lo, s18, v7
	;; [unrolled: 3-line block ×3, first 2 shown]
	s_wait_alu 0xfffd
	v_cndmask_b32_e64 v16, 0, -1, vcc_lo
	v_cmp_eq_u32_e32 vcc_lo, s19, v11
	s_wait_alu 0xf1ff
	s_delay_alu instid0(VALU_DEP_2)
	v_cndmask_b32_e64 v7, v16, v7, s2
	s_wait_alu 0xfffd
	v_cndmask_b32_e32 v11, v15, v14, vcc_lo
	v_add_co_u32 v14, vcc_lo, v4, 1
	s_wait_alu 0xfffd
	v_add_co_ci_u32_e32 v15, vcc_lo, 0, v10, vcc_lo
	s_delay_alu instid0(VALU_DEP_3) | instskip(SKIP_1) | instid1(VALU_DEP_2)
	v_cmp_ne_u32_e32 vcc_lo, 0, v11
	s_wait_alu 0xfffd
	v_dual_cndmask_b32 v8, v15, v13 :: v_dual_cndmask_b32 v11, v14, v12
	v_cmp_ne_u32_e32 vcc_lo, 0, v7
	s_wait_alu 0xfffd
	s_delay_alu instid0(VALU_DEP_2)
	v_dual_cndmask_b32 v8, v10, v8 :: v_dual_cndmask_b32 v7, v4, v11
.LBB0_4:                                ;   in Loop: Header=BB0_2 Depth=1
	s_wait_alu 0xfffe
	s_and_not1_saveexec_b32 s2, s20
	s_cbranch_execz .LBB0_6
; %bb.5:                                ;   in Loop: Header=BB0_2 Depth=1
	v_cvt_f32_u32_e32 v4, s18
	s_sub_co_i32 s20, 0, s18
	s_delay_alu instid0(VALU_DEP_1) | instskip(NEXT) | instid1(TRANS32_DEP_1)
	v_rcp_iflag_f32_e32 v4, v4
	v_mul_f32_e32 v4, 0x4f7ffffe, v4
	s_delay_alu instid0(VALU_DEP_1) | instskip(SKIP_1) | instid1(VALU_DEP_1)
	v_cvt_u32_f32_e32 v4, v4
	s_wait_alu 0xfffe
	v_mul_lo_u32 v7, s20, v4
	s_delay_alu instid0(VALU_DEP_1) | instskip(NEXT) | instid1(VALU_DEP_1)
	v_mul_hi_u32 v7, v4, v7
	v_add_nc_u32_e32 v4, v4, v7
	s_delay_alu instid0(VALU_DEP_1) | instskip(NEXT) | instid1(VALU_DEP_1)
	v_mul_hi_u32 v4, v5, v4
	v_mul_lo_u32 v7, v4, s18
	v_add_nc_u32_e32 v8, 1, v4
	s_delay_alu instid0(VALU_DEP_2) | instskip(NEXT) | instid1(VALU_DEP_1)
	v_sub_nc_u32_e32 v7, v5, v7
	v_subrev_nc_u32_e32 v10, s18, v7
	v_cmp_le_u32_e32 vcc_lo, s18, v7
	s_wait_alu 0xfffd
	s_delay_alu instid0(VALU_DEP_2) | instskip(NEXT) | instid1(VALU_DEP_1)
	v_dual_cndmask_b32 v7, v7, v10 :: v_dual_cndmask_b32 v4, v4, v8
	v_cmp_le_u32_e32 vcc_lo, s18, v7
	s_delay_alu instid0(VALU_DEP_2) | instskip(SKIP_1) | instid1(VALU_DEP_1)
	v_add_nc_u32_e32 v8, 1, v4
	s_wait_alu 0xfffd
	v_dual_cndmask_b32 v7, v4, v8 :: v_dual_mov_b32 v8, v3
.LBB0_6:                                ;   in Loop: Header=BB0_2 Depth=1
	s_wait_alu 0xfffe
	s_or_b32 exec_lo, exec_lo, s2
	s_load_b64 s[20:21], s[12:13], 0x0
	s_delay_alu instid0(VALU_DEP_1)
	v_mul_lo_u32 v4, v8, s18
	v_mul_lo_u32 v12, v7, s19
	v_mad_co_u64_u32 v[10:11], null, v7, s18, 0
	s_add_nc_u64 s[14:15], s[14:15], 1
	s_add_nc_u64 s[12:13], s[12:13], 8
	s_wait_alu 0xfffe
	v_cmp_ge_u64_e64 s2, s[14:15], s[6:7]
	s_add_nc_u64 s[16:17], s[16:17], 8
	s_delay_alu instid0(VALU_DEP_2) | instskip(NEXT) | instid1(VALU_DEP_3)
	v_add3_u32 v4, v11, v12, v4
	v_sub_co_u32 v5, vcc_lo, v5, v10
	s_wait_alu 0xfffd
	s_delay_alu instid0(VALU_DEP_2) | instskip(SKIP_3) | instid1(VALU_DEP_2)
	v_sub_co_ci_u32_e32 v4, vcc_lo, v6, v4, vcc_lo
	s_and_b32 vcc_lo, exec_lo, s2
	s_wait_kmcnt 0x0
	v_mul_lo_u32 v6, s21, v5
	v_mul_lo_u32 v4, s20, v4
	v_mad_co_u64_u32 v[1:2], null, s20, v5, v[1:2]
	s_delay_alu instid0(VALU_DEP_1)
	v_add3_u32 v2, v6, v2, v4
	s_wait_alu 0xfffe
	s_cbranch_vccnz .LBB0_9
; %bb.7:                                ;   in Loop: Header=BB0_2 Depth=1
	v_dual_mov_b32 v5, v7 :: v_dual_mov_b32 v6, v8
	s_branch .LBB0_2
.LBB0_8:
	v_dual_mov_b32 v8, v6 :: v_dual_mov_b32 v7, v5
.LBB0_9:
	s_lshl_b64 s[2:3], s[6:7], 3
	v_mul_hi_u32 v5, 0x28f5c29, v0
	s_wait_alu 0xfffe
	s_add_nc_u64 s[2:3], s[10:11], s[2:3]
                                        ; implicit-def: $vgpr20
                                        ; implicit-def: $vgpr17
                                        ; implicit-def: $vgpr16
                                        ; implicit-def: $vgpr14
                                        ; implicit-def: $vgpr13
                                        ; implicit-def: $vgpr18
                                        ; implicit-def: $vgpr23
                                        ; implicit-def: $vgpr24
                                        ; implicit-def: $vgpr22
                                        ; implicit-def: $vgpr21
                                        ; implicit-def: $vgpr25
                                        ; implicit-def: $vgpr26
                                        ; implicit-def: $vgpr28
                                        ; implicit-def: $vgpr29
                                        ; implicit-def: $vgpr31
                                        ; implicit-def: $vgpr32
                                        ; implicit-def: $vgpr30
                                        ; implicit-def: $vgpr27
                                        ; implicit-def: $vgpr15
	s_load_b64 s[2:3], s[2:3], 0x0
	s_load_b64 s[0:1], s[0:1], 0x20
	s_wait_kmcnt 0x0
	v_mul_lo_u32 v3, s2, v8
	v_mul_lo_u32 v4, s3, v7
	v_mad_co_u64_u32 v[1:2], null, s2, v7, v[1:2]
	v_cmp_gt_u64_e32 vcc_lo, s[0:1], v[7:8]
                                        ; implicit-def: $vgpr8
	s_delay_alu instid0(VALU_DEP_2) | instskip(SKIP_1) | instid1(VALU_DEP_2)
	v_add3_u32 v2, v4, v2, v3
	v_mul_u32_u24_e32 v3, 0x64, v5
                                        ; implicit-def: $vgpr5
	v_lshlrev_b64_e32 v[6:7], 2, v[1:2]
	s_delay_alu instid0(VALU_DEP_2)
	v_sub_nc_u32_e32 v4, v0, v3
                                        ; implicit-def: $vgpr0
                                        ; implicit-def: $vgpr2
                                        ; implicit-def: $vgpr3
                                        ; implicit-def: $vgpr1
	s_and_saveexec_b32 s1, vcc_lo
	s_cbranch_execz .LBB0_13
; %bb.10:
	v_mov_b32_e32 v5, 0
	s_delay_alu instid0(VALU_DEP_3) | instskip(SKIP_2) | instid1(VALU_DEP_3)
	v_add_co_u32 v2, s0, s8, v6
	s_wait_alu 0xf1ff
	v_add_co_ci_u32_e64 v3, s0, s9, v7, s0
	v_lshlrev_b64_e32 v[0:1], 2, v[4:5]
	s_mov_b32 s2, exec_lo
                                        ; implicit-def: $vgpr25
                                        ; implicit-def: $vgpr21
                                        ; implicit-def: $vgpr22
                                        ; implicit-def: $vgpr24
                                        ; implicit-def: $vgpr23
                                        ; implicit-def: $vgpr18
                                        ; implicit-def: $vgpr13
                                        ; implicit-def: $vgpr14
                                        ; implicit-def: $vgpr5
                                        ; implicit-def: $vgpr16
                                        ; implicit-def: $vgpr17
                                        ; implicit-def: $vgpr20
	s_delay_alu instid0(VALU_DEP_1) | instskip(SKIP_1) | instid1(VALU_DEP_2)
	v_add_co_u32 v0, s0, v2, v0
	s_wait_alu 0xf1ff
	v_add_co_ci_u32_e64 v1, s0, v3, v1, s0
                                        ; implicit-def: $vgpr3
                                        ; implicit-def: $vgpr2
	s_clause 0x9
	global_load_b32 v8, v[0:1], off
	global_load_b32 v15, v[0:1], off offset:640
	global_load_b32 v11, v[0:1], off offset:1280
	;; [unrolled: 1-line block ×9, first 2 shown]
	v_cmpx_gt_u32_e32 60, v4
	s_cbranch_execz .LBB0_12
; %bb.11:
	s_clause 0x9
	global_load_b32 v18, v[0:1], off offset:1680
	global_load_b32 v5, v[0:1], off offset:2960
	;; [unrolled: 1-line block ×10, first 2 shown]
	s_wait_loadcnt 0x9
	v_lshrrev_b32_e32 v17, 16, v18
	s_wait_loadcnt 0x8
	v_lshrrev_b32_e32 v16, 16, v5
	;; [unrolled: 2-line block ×4, first 2 shown]
	s_wait_loadcnt 0x5
	v_alignbit_b32 v18, v18, v20, 16
.LBB0_12:
	s_wait_alu 0xfffe
	s_or_b32 exec_lo, exec_lo, s2
	s_wait_loadcnt 0x9
	v_lshrrev_b32_e32 v0, 16, v8
	s_wait_loadcnt 0x5
	v_perm_b32 v26, v27, v11, 0x7060302
	s_wait_loadcnt 0x1
	v_perm_b32 v1, v29, v30, 0x7060302
	v_perm_b32 v28, v11, v27, 0x5040100
	;; [unrolled: 1-line block ×3, first 2 shown]
	v_bfi_b32 v31, 0xffff, v10, v12
	v_bfi_b32 v32, 0xffff, v12, v10
	s_wait_loadcnt 0x0
	v_bfi_b32 v30, 0xffff, v33, v19
	v_bfi_b32 v27, 0xffff, v19, v33
.LBB0_13:
	s_wait_alu 0xfffe
	s_or_b32 exec_lo, exec_lo, s1
	v_lshrrev_b32_e32 v10, 16, v28
	v_lshrrev_b32_e32 v11, 16, v29
	v_pk_add_f16 v35, v31, v30
	v_pk_add_f16 v19, v32, v27 neg_lo:[0,1] neg_hi:[0,1]
	v_pk_add_f16 v34, v31, v30 neg_lo:[0,1] neg_hi:[0,1]
	v_add_f16_e32 v10, v10, v8
	v_and_b32_e32 v9, 1, v9
	v_pk_add_f16 v33, v32, v27
	v_pk_add_f16 v36, v32, v31 neg_lo:[0,1] neg_hi:[0,1]
	v_pk_add_f16 v37, v27, v30 neg_lo:[0,1] neg_hi:[0,1]
	v_add_f16_e32 v10, v10, v28
	v_pk_mul_f16 v41, 0x38b4, v19 op_sel_hi:[0,1]
	v_pk_fma_f16 v33, v33, 0.5, v15 op_sel_hi:[1,0,1] neg_lo:[1,0,0] neg_hi:[1,0,0]
	v_pk_mul_f16 v38, 0x3b9c, v19 op_sel_hi:[0,1]
	v_cmp_eq_u32_e64 s0, 1, v9
	v_add_f16_e32 v10, v10, v29
	v_pk_mul_f16 v9, 0x38b4, v34 op_sel_hi:[0,1]
	v_pk_add_f16 v36, v36, v37
	v_lshrrev_b32_e32 v42, 16, v41
	v_pk_add_f16 v39, v33, v38 op_sel:[0,1] op_sel_hi:[1,0]
	v_add_f16_e32 v61, v10, v11
	v_pk_fma_f16 v10, v35, 0.5, v15 op_sel_hi:[1,0,1] neg_lo:[1,0,0] neg_hi:[1,0,0]
	v_pk_add_f16 v11, v31, v32 neg_lo:[0,1] neg_hi:[0,1]
	v_pk_add_f16 v35, v30, v27 neg_lo:[0,1] neg_hi:[0,1]
	v_pk_add_f16 v33, v33, v38 op_sel:[0,1] op_sel_hi:[1,0] neg_lo:[0,1] neg_hi:[0,1]
	v_pk_mul_f16 v43, 0x34f2, v36 op_sel_hi:[0,1]
	v_pk_fma_f16 v40, 0x3b9c, v34, v10 op_sel:[0,0,1] op_sel_hi:[0,1,0] neg_lo:[0,1,0] neg_hi:[0,1,0]
	v_pk_fma_f16 v10, 0x3b9c, v34, v10 op_sel:[0,0,1] op_sel_hi:[0,1,0]
	v_pk_add_f16 v11, v11, v35
	v_lshrrev_b32_e32 v35, 16, v9
	v_lshrrev_b32_e32 v54, 16, v18
	;; [unrolled: 1-line block ×3, first 2 shown]
	v_sub_f16_e32 v38, v40, v41
	v_pk_mul_f16 v34, 0x34f2, v11 op_sel_hi:[0,1]
	v_add_f16_e32 v35, v35, v39
	v_pk_add_f16 v40, v33, v9 op_sel:[0,1] op_sel_hi:[1,0] neg_lo:[0,1] neg_hi:[0,1]
	v_add_f16_e32 v37, v42, v37
	v_pk_fma_f16 v42, 0x38b4, v19, v10 op_sel_hi:[0,1,1]
	v_pk_fma_f16 v10, 0x38b4, v19, v10 op_sel_hi:[0,1,1] neg_lo:[0,1,0] neg_hi:[0,1,0]
	v_pk_add_f16 v33, v33, v9 op_sel:[0,1] op_sel_hi:[1,0]
	v_add_f16_e32 v36, v34, v35
	v_add_f16_e32 v37, v43, v37
	v_lshrrev_b32_e32 v35, 16, v39
	v_bfi_b32 v10, 0xffff, v42, v10
	v_lshrrev_b32_e32 v39, 16, v43
	v_lshrrev_b32_e32 v34, 16, v34
	v_pk_add_f16 v46, v23, v22 neg_lo:[0,1] neg_hi:[0,1]
	v_sub_f16_e32 v9, v35, v9
	v_pk_add_f16 v43, v43, v10 op_sel:[1,0] op_sel_hi:[0,1]
	v_bfi_b32 v10, 0xffff, v40, v33
	v_add_f16_e32 v35, v5, v13
	v_add_f16_e32 v38, v39, v38
	v_sub_f16_e32 v33, v14, v13
	v_add_f16_e32 v44, v34, v9
	v_pk_fma_f16 v39, 0x34f2, v11, v10 op_sel_hi:[0,1,1]
	v_sub_f16_e32 v11, v54, v5
	v_fma_f16 v51, -0.5, v35, v20
	v_sub_f16_e32 v9, v17, v2
	v_pk_add_f16 v35, v21, v22 neg_lo:[0,1] neg_hi:[0,1]
	v_sub_f16_e32 v10, v16, v3
	v_add_f16_e32 v11, v11, v33
	v_pk_add_f16 v33, v24, v23 neg_lo:[0,1] neg_hi:[0,1]
	v_fmamk_f16 v52, v9, 0xbb9c, v51
	v_add_f16_e32 v34, v54, v14
	v_fmac_f16_e32 v51, 0x3b9c, v9
	v_pk_add_f16 v45, v24, v21 neg_lo:[0,1] neg_hi:[0,1]
	v_pk_add_f16 v33, v33, v35
	v_fmac_f16_e32 v52, 0xb8b4, v10
	v_fma_f16 v55, -0.5, v34, v20
	v_fmac_f16_e32 v51, 0x38b4, v10
	v_add_f16_e32 v34, v23, v22
	v_bfi_b32 v33, 0xffff, v33, v46
	v_fmac_f16_e32 v52, 0x34f2, v11
	v_lshrrev_b32_e32 v49, 16, v45
	v_fmac_f16_e32 v51, 0x34f2, v11
	v_fma_f16 v11, -0.5, v34, v25
	v_pk_mul_f16 v50, 0x38b434f2, v33
	v_fmamk_f16 v56, v10, 0x3b9c, v55
	v_sub_f16_e32 v35, v5, v54
	v_sub_f16_e32 v40, v13, v14
	v_fmac_f16_e32 v55, 0xbb9c, v10
	v_fmamk_f16 v10, v49, 0xbb9c, v11
	v_lshrrev_b32_e32 v53, 16, v50
	v_lshrrev_b32_e32 v34, 16, v23
	;; [unrolled: 1-line block ×3, first 2 shown]
	v_fmac_f16_e32 v56, 0xb8b4, v9
	v_add_f16_e32 v40, v35, v40
	v_fmac_f16_e32 v55, 0x38b4, v9
	v_sub_f16_e32 v9, v10, v53
	v_lshrrev_b32_e32 v35, 16, v25
	v_add_f16_e32 v10, v34, v33
	v_pk_add_f16 v41, v24, v21
	v_pk_add_f16 v57, v23, v24 neg_lo:[0,1] neg_hi:[0,1]
	v_add_f16_e32 v47, v50, v9
	v_pk_mul_f16 v59, 0x38b4, v45 op_sel_hi:[0,1]
	v_fma_f16 v42, -0.5, v10, v35
	v_pk_fma_f16 v9, v41, 0.5, v25 op_sel_hi:[1,0,1] neg_lo:[1,0,0] neg_hi:[1,0,0]
	v_pk_mul_f16 v10, 0x3b9c, v46 op_sel_hi:[0,1]
	v_pk_add_f16 v60, v22, v21 neg_lo:[0,1] neg_hi:[0,1]
	v_fmac_f16_e32 v11, 0x3b9c, v49
	v_fmamk_f16 v48, v45, 0x3b9c, v42
	v_fmac_f16_e32 v42, 0xbb9c, v45
	v_pk_add_f16 v58, v9, v10 op_sel:[0,1] op_sel_hi:[1,0] neg_lo:[0,1] neg_hi:[0,1]
	v_pk_add_f16 v9, v9, v10 op_sel:[0,1] op_sel_hi:[1,0]
	v_pk_add_f16 v10, v57, v60
	v_fmac_f16_e32 v56, 0x34f2, v40
	v_fmac_f16_e32 v55, 0x34f2, v40
	v_pk_add_f16 v58, v59, v58 op_sel:[1,0] op_sel_hi:[0,1]
	v_pk_add_f16 v9, v9, v59 op_sel:[0,1] op_sel_hi:[1,0] neg_lo:[0,1] neg_hi:[0,1]
	v_lshrrev_b32_e32 v41, 16, v24
	v_lshrrev_b32_e32 v40, 16, v21
	v_add_f16_e32 v11, v53, v11
	v_pk_fma_f16 v45, 0x34f2, v10, v58 op_sel_hi:[0,1,1]
	v_pk_fma_f16 v49, 0x34f2, v10, v9 op_sel_hi:[0,1,1]
	v_sub_f16_e32 v65, v41, v34
	v_sub_f16_e32 v66, v40, v33
	v_fmac_f16_e32 v48, 0x38b4, v46
	v_lshrrev_b32_e32 v9, 16, v45
	v_lshrrev_b32_e32 v10, 16, v49
	v_fmac_f16_e32 v42, 0xb8b4, v46
	v_add_f16_e32 v46, v50, v11
	v_pk_add_f16 v11, v26, v1 neg_lo:[0,1] neg_hi:[0,1]
	v_mul_f16_e32 v58, 0xbb9c, v9
	v_pk_add_f16 v9, v28, v29
	v_mul_f16_e32 v59, 0xbb9c, v10
	v_pk_add_f16 v12, v15, v31
	v_add_f16_e32 v60, v65, v66
	v_pk_add_f16 v53, v28, v28 op_sel:[1,0] op_sel_hi:[0,1] neg_lo:[0,1] neg_hi:[0,1]
	v_pk_fma_f16 v10, v9, 0.5, v8 op_sel_hi:[1,0,0] neg_lo:[1,0,0] neg_hi:[1,0,0]
	v_pk_add_f16 v66, v29, v29 op_sel:[1,0] op_sel_hi:[0,1] neg_lo:[0,1] neg_hi:[0,1]
	v_pk_add_f16 v12, v12, v32
	v_mul_f16_e32 v62, 0xbb9c, v44
	v_fmac_f16_e32 v48, 0x34f2, v60
	v_pk_fma_f16 v50, 0x3b9c, v11, v10 op_sel_hi:[0,1,1]
	v_pk_fma_f16 v65, 0x3b9c, v11, v10 op_sel_hi:[0,1,1] neg_lo:[0,1,0] neg_hi:[0,1,0]
	v_pk_mul_f16 v11, 0x38b4, v11 op_sel_hi:[0,1]
	v_pk_add_f16 v66, v53, v66
	v_bfi_b32 v53, 0xffff, v43, v39
	v_pk_add_f16 v12, v12, v27
	v_bfi_b32 v68, 0xffff, v65, v50
	v_pk_add_f16 v65, v11, v65 op_sel:[1,0] op_sel_hi:[0,1]
	v_fmac_f16_e32 v42, 0x34f2, v60
	v_mul_u32_u24_e32 v67, 10, v4
	v_lshrrev_b32_e32 v69, 16, v11
	v_pk_add_f16 v11, v68, v11 op_sel:[0,1] op_sel_hi:[1,0] neg_lo:[0,1] neg_hi:[0,1]
	v_bfi_b32 v68, 0xffff, v39, v43
	v_pk_mul_f16 v70, 0xbb9cb8b4, v53
	v_pk_fma_f16 v65, 0x34f2, v66, v65 op_sel_hi:[0,1,1]
	v_pk_add_f16 v12, v12, v30
	v_fmac_f16_e32 v62, 0xb4f2, v37
	v_mul_f16_e32 v57, 0xb8b4, v48
	v_mul_f16_e32 v60, 0xb8b4, v42
	v_add_f16_e32 v69, v69, v50
	v_lshl_add_u32 v53, v67, 1, 0
	v_pk_fma_f16 v67, 0x34f2, v66, v11 op_sel_hi:[0,1,1]
	v_pk_fma_f16 v68, 0x34f23a79, v68, v70
	v_lshrrev_b32_e32 v70, 16, v65
	v_mul_f16_e32 v64, 0xb8b4, v38
	s_wait_alu 0xf1ff
	v_cndmask_b32_e64 v63, 0, 0x640, s0
	v_add_f16_e32 v19, v61, v12
	v_fmac_f16_e32 v57, 0x3a79, v47
	v_fmac_f16_e32 v58, 0x34f2, v49
	;; [unrolled: 1-line block ×5, first 2 shown]
	v_pk_add_f16 v66, v67, v68
	v_add_f16_e32 v70, v70, v62
	v_pack_b32_f16 v61, v61, v67
	v_pack_b32_f16 v12, v12, v68
	v_fmac_f16_e32 v64, 0xba79, v36
	v_perm_b32 v65, v65, v67, 0x7060302
	v_alignbit_b32 v62, v62, v68, 16
	v_sub_f16_e32 v9, v52, v57
	v_sub_f16_e32 v8, v56, v58
	;; [unrolled: 1-line block ×4, first 2 shown]
	v_lshl_add_u32 v50, v63, 1, v53
	v_alignbit_b32 v67, v70, v66, 16
	v_pack_b32_f16 v66, v19, v66
	v_pk_add_f16 v61, v61, v12 neg_lo:[0,1] neg_hi:[0,1]
	v_add_nc_u32_e32 v12, 0x64, v4
	v_cmp_gt_u32_e64 s0, 60, v4
	v_lshlrev_b32_e32 v19, 1, v63
	v_add_f16_e32 v71, v69, v64
	v_pk_add_f16 v62, v65, v62 neg_lo:[0,1] neg_hi:[0,1]
	v_sub_f16_e32 v64, v69, v64
	ds_store_2addr_b32 v50, v66, v67 offset1:1
	ds_store_b16 v50, v71 offset:8
	ds_store_b64 v50, v[61:62] offset:10
	ds_store_b16 v50, v64 offset:18
	s_and_saveexec_b32 s1, s0
	s_cbranch_execz .LBB0_15
; %bb.14:
	v_pk_add_f16 v24, v25, v24
	v_add_f16_e32 v20, v20, v54
	v_mul_u32_u24_e32 v25, 20, v12
	s_delay_alu instid0(VALU_DEP_3) | instskip(NEXT) | instid1(VALU_DEP_3)
	v_pk_add_f16 v23, v24, v23
	v_add_f16_e32 v20, v20, v5
	v_add_f16_e32 v24, v56, v58
	s_delay_alu instid0(VALU_DEP_4) | instskip(NEXT) | instid1(VALU_DEP_4)
	v_add3_u32 v25, 0, v25, v19
	v_pk_add_f16 v22, v23, v22
	s_delay_alu instid0(VALU_DEP_4) | instskip(SKIP_1) | instid1(VALU_DEP_3)
	v_add_f16_e32 v20, v20, v13
	v_add_f16_e32 v23, v51, v60
	v_pk_add_f16 v21, v21, v22
	s_delay_alu instid0(VALU_DEP_3) | instskip(SKIP_1) | instid1(VALU_DEP_3)
	v_add_f16_e32 v20, v14, v20
	v_add_f16_e32 v22, v55, v59
	v_perm_b32 v51, v52, v21, 0x5040100
	s_delay_alu instid0(VALU_DEP_3) | instskip(SKIP_1) | instid1(VALU_DEP_4)
	v_perm_b32 v52, v57, v20, 0x5040100
	v_sub_f16_e32 v20, v20, v21
	v_pack_b32_f16 v22, v24, v22
	v_perm_b32 v21, v8, v9, 0x5040100
	s_delay_alu instid0(VALU_DEP_4) | instskip(NEXT) | instid1(VALU_DEP_4)
	v_pk_add_f16 v24, v51, v52
	v_pack_b32_f16 v20, v23, v20
	v_perm_b32 v23, v11, v10, 0x5040100
	ds_store_2addr_b32 v25, v24, v22 offset1:1
	ds_store_2addr_b32 v25, v20, v21 offset0:2 offset1:3
	ds_store_b32 v25, v23 offset:16
.LBB0_15:
	s_wait_alu 0xfffe
	s_or_b32 exec_lo, exec_lo, s1
	v_pk_add_f16 v15, v15, v32
	v_add_f16_e32 v20, v26, v0
	v_lshrrev_b32_e32 v21, 16, v26
	v_pk_add_f16 v22, v26, v1
	v_lshrrev_b32_e32 v23, 16, v1
	v_pk_add_f16 v15, v15, v31
	v_pk_add_f16 v24, v28, v29 neg_lo:[0,1] neg_hi:[0,1]
	v_add_f16_e32 v20, v20, v21
	v_pk_fma_f16 v0, v22, -0.5, v0 op_sel_hi:[1,0,0]
	v_pk_add_f16 v21, v26, v26 op_sel:[0,1] op_sel_hi:[1,0] neg_lo:[0,1] neg_hi:[0,1]
	v_pk_add_f16 v15, v15, v30
	v_pk_add_f16 v22, v1, v1 op_sel:[0,1] op_sel_hi:[1,0] neg_lo:[0,1] neg_hi:[0,1]
	v_add_f16_e32 v20, v20, v23
	v_pk_fma_f16 v23, 0x3b9c, v24, v0 op_sel_hi:[0,1,1] neg_lo:[0,1,0] neg_hi:[0,1,0]
	v_pk_fma_f16 v0, 0x3b9c, v24, v0 op_sel_hi:[0,1,1]
	v_pk_add_f16 v15, v15, v27
	v_pk_mul_f16 v25, 0x38b4, v24 op_sel_hi:[0,1]
	v_pk_add_f16 v21, v21, v22
	v_lshrrev_b32_e32 v22, 16, v23
	v_alignbit_b32 v23, v23, v0, 16
	v_add_f16_e32 v1, v20, v1
	v_lshrrev_b32_e32 v20, 16, v15
	v_pk_mul_f16 v26, 0x34f2, v21 op_sel_hi:[0,1]
	v_sub_f16_e32 v22, v22, v25
	v_pk_fma_f16 v23, 0x38b4, v24, v23 op_sel_hi:[0,1,1]
	v_alignbit_b32 v24, s0, v25, 16
	v_add_f16_e32 v54, v1, v20
	v_mul_f16_e32 v25, 0x3a79, v38
	v_add_f16_e32 v55, v26, v22
	v_pk_fma_f16 v20, 0x34f2, v21, v23 op_sel_hi:[0,1,1]
	v_pk_add_f16 v0, v0, v24 neg_lo:[0,1] neg_hi:[0,1]
	v_alignbit_b32 v21, s0, v26, 16
	v_pk_mul_f16 v22, 0x3b9c3a79, v43
	v_mul_f16_e32 v23, 0x34f2, v44
	v_add_f16_e32 v24, v17, v2
	v_pack_b32_f16 v1, v1, v20
	v_pk_add_f16 v0, v21, v0
	v_pk_fma_f16 v21, 0x34f238b4, v39, v22
	v_fma_f16 v22, v37, 0x3b9c, -v23
	v_mul_f16_e32 v23, 0.5, v24
	v_fma_f16 v56, v36, 0x38b4, -v25
	global_wb scope:SCOPE_SE
	s_wait_dscnt 0x0
	v_alignbit_b32 v15, v21, v15, 16
	v_pk_add_f16 v57, v20, v21
	v_perm_b32 v14, v14, v23, 0x5040100
	v_alignbit_b32 v52, v22, v21, 16
	v_add_f16_e32 v58, v0, v22
	v_pk_add_f16 v51, v1, v15 neg_lo:[0,1] neg_hi:[0,1]
	v_sub_f16_e32 v1, v5, v13
	v_pk_add_f16 v5, v18, v14 neg_lo:[0,1] neg_hi:[0,1]
	v_alignbit_b32 v13, v0, v20, 16
	v_sub_f16_e32 v14, v17, v16
	v_sub_f16_e32 v15, v2, v3
	v_mul_f16_e32 v21, 0x3b9c, v1
	v_bfi_b32 v20, 0xffff, v1, v5
	v_fmamk_f16 v1, v1, 0xbb9c, v5
	v_add_f16_e32 v0, v16, v3
	v_add_f16_e32 v14, v14, v15
	v_sub_f16_e32 v22, v16, v17
	v_pk_mul_f16 v15, 0x3b9c38b4, v20
	v_pack_b32_f16 v20, v21, 0x38b4
	v_pk_mul_f16 v21, 0x38b40000, v5
	v_sub_f16_e32 v23, v3, v2
	v_fma_f16 v0, -0.5, v0, v18
	v_lshrrev_b32_e32 v24, 16, v15
	v_pk_add_f16 v25, v5, v20
	v_alignbit_b32 v1, v1, v21, 16
	v_alignbit_b32 v21, s0, v21, 16
	v_add_f16_e32 v22, v22, v23
	v_add_f16_e32 v23, v24, v0
	v_sub_f16_e32 v24, v0, v24
	v_pk_fma_f16 v5, v5, v20, v1
	v_pk_add_f16 v20, v25, v21 neg_lo:[0,1] neg_hi:[0,1]
	v_mul_f16_e32 v21, 0x34f2, v22
	v_add_f16_e32 v1, v15, v23
	v_sub_f16_e32 v43, v24, v15
	s_barrier_signal -1
	v_bfi_b32 v5, 0xffff, v20, v5
	s_barrier_wait -1
	v_fmac_f16_e32 v1, 0x34f2, v14
	v_fmac_f16_e32 v43, 0x34f2, v14
	v_mul_i32_i24_e32 v14, 0xffffffee, v4
	v_pk_add_f16 v44, v21, v5 op_sel_hi:[0,1]
	v_lshlrev_b32_e32 v5, 1, v4
	global_inv scope:SCOPE_SE
	v_mul_f16_e32 v0, 0x38b4, v47
	v_pk_mul_f16 v15, 0x34f23b9c, v49
	v_mul_f16_e32 v42, 0x3a79, v42
	v_add3_u32 v21, 0, v19, v5
	v_add3_u32 v5, v53, v14, v19
	ds_load_u16 v20, v21
	ds_load_u16 v39, v5 offset:200
	ds_load_u16 v38, v5 offset:400
	;; [unrolled: 1-line block ×15, first 2 shown]
	v_fmac_f16_e32 v0, 0x3a79, v48
	v_pk_fma_f16 v47, 0x34f23b9c, v45, v15 op_sel:[0,0,1] op_sel_hi:[1,1,0]
	v_bfi_b32 v14, 0xffff, v1, v44
	v_pk_fma_f16 v45, 0x34f23b9c, v45, v15 op_sel:[0,0,1] op_sel_hi:[1,1,0] neg_lo:[0,0,1] neg_hi:[0,0,1]
	v_fma_f16 v42, v46, 0x38b4, -v42
	v_pk_add_f16 v52, v13, v52 neg_lo:[0,1] neg_hi:[0,1]
	v_bfi_b32 v48, 0xffff, v0, v47
	v_pack_b32_f16 v49, v54, v57
	v_add_f16_e32 v59, v55, v56
	v_sub_f16_e32 v13, v43, v42
	v_sub_f16_e32 v46, v55, v56
	v_pk_add_f16 v15, v14, v48 neg_lo:[0,1] neg_hi:[0,1]
	v_sub_f16_e32 v14, v44, v45
	v_alignbit_b32 v48, v58, v57, 16
	global_wb scope:SCOPE_SE
	s_wait_dscnt 0x0
	s_barrier_signal -1
	s_barrier_wait -1
	global_inv scope:SCOPE_SE
	ds_store_2addr_b32 v50, v49, v48 offset1:1
	ds_store_b16 v50, v59 offset:8
	ds_store_b64 v50, v[51:52] offset:10
	ds_store_b16 v50, v46 offset:18
	s_and_saveexec_b32 s1, s0
	s_cbranch_execz .LBB0_17
; %bb.16:
	v_add_f16_e32 v17, v18, v17
	v_add_f16_e32 v18, v35, v41
	;; [unrolled: 1-line block ×4, first 2 shown]
	s_delay_alu instid0(VALU_DEP_4) | instskip(NEXT) | instid1(VALU_DEP_4)
	v_add_f16_e32 v16, v17, v16
	v_add_f16_e32 v17, v18, v34
	v_mul_u32_u24_e32 v18, 10, v12
	s_delay_alu instid0(VALU_DEP_3) | instskip(NEXT) | instid1(VALU_DEP_3)
	v_add_f16_e32 v3, v16, v3
	v_add_f16_e32 v16, v17, v33
	v_bfi_b32 v17, 0xffff, v45, v47
	s_delay_alu instid0(VALU_DEP_3) | instskip(NEXT) | instid1(VALU_DEP_3)
	v_add_f16_e32 v2, v2, v3
	v_add_f16_e32 v3, v40, v16
	v_lshlrev_b32_e32 v16, 1, v18
	s_delay_alu instid0(VALU_DEP_4) | instskip(NEXT) | instid1(VALU_DEP_3)
	v_pk_add_f16 v17, v44, v17
	v_add_f16_e32 v18, v3, v2
	v_sub_f16_e32 v2, v2, v3
	s_delay_alu instid0(VALU_DEP_4) | instskip(NEXT) | instid1(VALU_DEP_4)
	v_add3_u32 v3, 0, v16, v19
	v_alignbit_b32 v16, v17, v17, 16
	s_delay_alu instid0(VALU_DEP_4) | instskip(NEXT) | instid1(VALU_DEP_4)
	v_pack_b32_f16 v0, v18, v0
	v_pack_b32_f16 v1, v1, v2
	v_perm_b32 v2, v13, v14, 0x5040100
	ds_store_2addr_b32 v3, v0, v16 offset1:1
	ds_store_2addr_b32 v3, v1, v15 offset0:2 offset1:3
	ds_store_b32 v3, v2 offset:16
.LBB0_17:
	s_wait_alu 0xfffe
	s_or_b32 exec_lo, exec_lo, s1
	v_and_b32_e32 v0, 0xff, v4
	global_wb scope:SCOPE_SE
	s_wait_dscnt 0x0
	s_barrier_signal -1
	s_barrier_wait -1
	global_inv scope:SCOPE_SE
	v_mul_lo_u16 v0, 0xcd, v0
	s_delay_alu instid0(VALU_DEP_1) | instskip(NEXT) | instid1(VALU_DEP_1)
	v_lshrrev_b16 v33, 11, v0
	v_mul_lo_u16 v0, v33, 10
	v_and_b32_e32 v33, 0xffff, v33
	s_delay_alu instid0(VALU_DEP_2) | instskip(NEXT) | instid1(VALU_DEP_2)
	v_sub_nc_u16 v0, v4, v0
	v_mul_u32_u24_e32 v33, 0xa0, v33
	s_delay_alu instid0(VALU_DEP_2) | instskip(NEXT) | instid1(VALU_DEP_1)
	v_and_b32_e32 v34, 0xff, v0
	v_mul_u32_u24_e32 v0, 15, v34
	s_delay_alu instid0(VALU_DEP_3) | instskip(NEXT) | instid1(VALU_DEP_2)
	v_or_b32_e32 v33, v33, v34
	v_lshlrev_b32_e32 v16, 2, v0
	s_delay_alu instid0(VALU_DEP_2)
	v_lshlrev_b32_e32 v33, 1, v33
	s_clause 0x3
	global_load_b128 v[44:47], v16, s[4:5]
	global_load_b128 v[0:3], v16, s[4:5] offset:16
	global_load_b128 v[48:51], v16, s[4:5] offset:32
	global_load_b96 v[16:18], v16, s[4:5] offset:48
	ds_load_u16 v41, v21
	ds_load_u16 v35, v5 offset:200
	ds_load_u16 v52, v5 offset:400
	;; [unrolled: 1-line block ×15, first 2 shown]
	v_add3_u32 v40, 0, v33, v19
	global_wb scope:SCOPE_SE
	s_wait_loadcnt_dscnt 0x0
	s_barrier_signal -1
	s_barrier_wait -1
	global_inv scope:SCOPE_SE
	v_lshrrev_b32_e32 v19, 16, v44
	v_lshrrev_b32_e32 v33, 16, v45
	;; [unrolled: 1-line block ×15, first 2 shown]
	v_mul_f16_e32 v76, v35, v19
	v_mul_f16_e32 v19, v39, v19
	;; [unrolled: 1-line block ×29, first 2 shown]
	v_fmac_f16_e32 v76, v39, v44
	v_fma_f16 v19, v35, v44, -v19
	v_fmac_f16_e32 v77, v38, v45
	v_fma_f16 v33, v52, v45, -v33
	;; [unrolled: 2-line block ×6, first 2 shown]
	v_fmac_f16_e32 v83, v22, v3
	v_fmac_f16_e32 v84, v29, v48
	v_fma_f16 v29, v34, v48, -v69
	v_fmac_f16_e32 v85, v28, v49
	v_fma_f16 v28, v58, v49, -v70
	v_fmac_f16_e32 v86, v27, v50
	v_fmac_f16_e32 v87, v26, v51
	v_fma_f16 v26, v60, v51, -v72
	v_fmac_f16_e32 v88, v25, v16
	v_fma_f16 v16, v61, v16, -v73
	;; [unrolled: 2-line block ×4, first 2 shown]
	v_fma_f16 v35, v53, v46, -v64
	v_fmac_f16_e32 v79, v36, v47
	v_fma_f16 v27, v59, v50, -v71
	v_sub_f16_e32 v23, v20, v83
	v_sub_f16_e32 v26, v37, v26
	;; [unrolled: 1-line block ×15, first 2 shown]
	v_fma_f16 v39, v77, 2.0, -v25
	v_fma_f16 v46, v33, 2.0, -v28
	;; [unrolled: 1-line block ×11, first 2 shown]
	v_add_f16_e32 v51, v23, v26
	v_add_f16_e32 v52, v25, v17
	v_sub_f16_e32 v53, v28, v30
	v_add_f16_e32 v16, v31, v16
	v_add_f16_e32 v18, v34, v18
	v_fma_f16 v20, v20, 2.0, -v23
	v_fma_f16 v38, v79, 2.0, -v24
	;; [unrolled: 1-line block ×3, first 2 shown]
	v_sub_f16_e32 v17, v29, v32
	v_sub_f16_e32 v30, v27, v36
	v_fma_f16 v36, v23, 2.0, -v51
	v_sub_f16_e32 v1, v39, v33
	v_sub_f16_e32 v49, v46, v44
	v_fma_f16 v54, v25, 2.0, -v52
	v_fma_f16 v56, v28, 2.0, -v53
	v_sub_f16_e32 v28, v45, v47
	v_sub_f16_e32 v33, v19, v0
	v_fma_f16 v31, v31, 2.0, -v16
	v_sub_f16_e32 v44, v48, v50
	v_fma_f16 v34, v34, 2.0, -v18
	;; [unrolled: 2-line block ×4, first 2 shown]
	v_fmamk_f16 v55, v52, 0x39a8, v51
	v_fmamk_f16 v0, v18, 0x39a8, v16
	v_fma_f16 v45, v45, 2.0, -v28
	v_fma_f16 v50, v19, 2.0, -v33
	;; [unrolled: 1-line block ×3, first 2 shown]
	v_fmamk_f16 v57, v54, 0xb9a8, v36
	v_fmamk_f16 v38, v34, 0xb9a8, v31
	;; [unrolled: 1-line block ×3, first 2 shown]
	v_fma_f16 v20, v20, 2.0, -v32
	v_fma_f16 v39, v39, 2.0, -v1
	v_add_f16_e32 v58, v32, v49
	v_fmac_f16_e32 v55, 0x39a8, v53
	v_fmamk_f16 v25, v27, 0xb9a8, v29
	v_add_f16_e32 v60, v28, v2
	v_sub_f16_e32 v61, v33, v44
	v_fmac_f16_e32 v0, 0x39a8, v30
	v_fmac_f16_e32 v57, 0x39a8, v56
	v_sub_f16_e32 v44, v45, v19
	v_fmac_f16_e32 v38, 0x39a8, v27
	v_fma_f16 v35, v35, 2.0, -v2
	v_fmac_f16_e32 v23, 0xb9a8, v18
	v_sub_f16_e32 v30, v20, v39
	v_fma_f16 v32, v32, 2.0, -v58
	v_fma_f16 v59, v51, 2.0, -v55
	v_fmac_f16_e32 v25, 0xb9a8, v34
	v_fma_f16 v62, v28, 2.0, -v60
	v_fma_f16 v63, v33, 2.0, -v61
	;; [unrolled: 1-line block ×6, first 2 shown]
	v_sub_f16_e32 v51, v50, v35
	v_fma_f16 v47, v17, 2.0, -v23
	v_fmamk_f16 v16, v60, 0x39a8, v58
	v_fmamk_f16 v17, v0, 0x3b64, v55
	v_fma_f16 v27, v20, 2.0, -v30
	v_fma_f16 v48, v29, 2.0, -v25
	v_fmamk_f16 v2, v62, 0xb9a8, v32
	v_fmamk_f16 v18, v39, 0xb61f, v59
	v_fmamk_f16 v20, v38, 0x361f, v57
	v_fmamk_f16 v31, v45, 0xbb64, v28
	v_add_f16_e32 v19, v30, v51
	v_fmac_f16_e32 v16, 0x39a8, v61
	v_fmac_f16_e32 v17, 0x361f, v23
	v_sub_f16_e32 v29, v27, v33
	v_fmac_f16_e32 v2, 0x39a8, v63
	v_fmac_f16_e32 v18, 0x3b64, v47
	;; [unrolled: 1-line block ×4, first 2 shown]
	v_fma_f16 v30, v30, 2.0, -v19
	v_fma_f16 v33, v58, 2.0, -v16
	;; [unrolled: 1-line block ×8, first 2 shown]
	ds_store_b16 v40, v29 offset:160
	ds_store_b16 v40, v31 offset:180
	ds_store_b16 v40, v2 offset:200
	ds_store_b16 v40, v18 offset:220
	ds_store_b16 v40, v19 offset:240
	ds_store_b16 v40, v20 offset:260
	ds_store_b16 v40, v16 offset:280
	ds_store_b16 v40, v17 offset:300
	ds_store_b16 v40, v27
	ds_store_b16 v40, v28 offset:20
	ds_store_b16 v40, v32 offset:40
	;; [unrolled: 1-line block ×7, first 2 shown]
	global_wb scope:SCOPE_SE
	s_wait_dscnt 0x0
	s_barrier_signal -1
	s_barrier_wait -1
	global_inv scope:SCOPE_SE
	ds_load_u16 v27, v21
	ds_load_u16 v31, v5 offset:320
	ds_load_u16 v28, v5 offset:640
	;; [unrolled: 1-line block ×9, first 2 shown]
	v_mul_f16_e32 v55, 0x39a8, v54
	v_mul_f16_e32 v58, 0x39a8, v56
	;; [unrolled: 1-line block ×8, first 2 shown]
	s_and_saveexec_b32 s1, s0
	s_cbranch_execz .LBB0_19
; %bb.18:
	ds_load_u16 v2, v5 offset:200
	ds_load_u16 v18, v5 offset:520
	;; [unrolled: 1-line block ×10, first 2 shown]
.LBB0_19:
	s_wait_alu 0xfffe
	s_or_b32 exec_lo, exec_lo, s1
	v_mul_f16_e32 v22, v22, v43
	global_wb scope:SCOPE_SE
	s_wait_dscnt 0x0
	s_barrier_signal -1
	s_barrier_wait -1
	global_inv scope:SCOPE_SE
	v_fma_f16 v3, v42, v3, -v22
	v_fma_f16 v22, v37, 2.0, -v26
	v_fma_f16 v37, v46, 2.0, -v49
	s_delay_alu instid0(VALU_DEP_3) | instskip(NEXT) | instid1(VALU_DEP_1)
	v_sub_f16_e32 v3, v41, v3
	v_sub_f16_e32 v24, v3, v24
	v_fma_f16 v26, v41, 2.0, -v3
	v_fma_f16 v41, v50, 2.0, -v51
	s_delay_alu instid0(VALU_DEP_3) | instskip(NEXT) | instid1(VALU_DEP_3)
	v_fma_f16 v3, v3, 2.0, -v24
	v_sub_f16_e32 v22, v26, v22
	v_add_f16_e32 v42, v24, v59
	s_delay_alu instid0(VALU_DEP_3) | instskip(NEXT) | instid1(VALU_DEP_3)
	v_sub_f16_e32 v43, v3, v58
	v_fma_f16 v26, v26, 2.0, -v22
	v_sub_f16_e32 v1, v22, v1
	s_delay_alu instid0(VALU_DEP_4) | instskip(NEXT) | instid1(VALU_DEP_4)
	v_sub_f16_e32 v42, v42, v57
	v_sub_f16_e32 v43, v43, v55
	s_delay_alu instid0(VALU_DEP_4) | instskip(NEXT) | instid1(VALU_DEP_4)
	v_sub_f16_e32 v37, v26, v37
	v_fma_f16 v46, v22, 2.0, -v1
	s_delay_alu instid0(VALU_DEP_4)
	v_fmamk_f16 v22, v23, 0x3b64, v42
	v_fma_f16 v49, v24, 2.0, -v42
	v_fma_f16 v55, v3, 2.0, -v43
	;; [unrolled: 1-line block ×3, first 2 shown]
	v_sub_f16_e32 v3, v46, v54
	v_fmac_f16_e32 v22, 0xb61f, v0
	v_fmamk_f16 v23, v47, 0xb61f, v49
	v_fmamk_f16 v0, v48, 0xbb64, v55
	;; [unrolled: 1-line block ×3, first 2 shown]
	v_add_f16_e32 v50, v1, v56
	v_sub_f16_e32 v41, v51, v41
	v_sub_f16_e32 v3, v3, v52
	v_fmac_f16_e32 v0, 0xb61f, v45
	v_fmac_f16_e32 v23, 0xbb64, v39
	v_sub_f16_e32 v24, v37, v44
	v_fmac_f16_e32 v25, 0xbb64, v38
	v_sub_f16_e32 v26, v50, v53
	v_fma_f16 v39, v51, 2.0, -v41
	v_fma_f16 v38, v42, 2.0, -v22
	v_fma_f16 v42, v55, 2.0, -v0
	v_fma_f16 v44, v46, 2.0, -v3
	v_fma_f16 v45, v49, 2.0, -v23
	v_fma_f16 v37, v37, 2.0, -v24
	v_fma_f16 v43, v43, 2.0, -v25
	v_fma_f16 v1, v1, 2.0, -v26
	ds_store_b16 v40, v39
	ds_store_b16 v40, v42 offset:20
	ds_store_b16 v40, v44 offset:40
	;; [unrolled: 1-line block ×15, first 2 shown]
	global_wb scope:SCOPE_SE
	s_wait_dscnt 0x0
	s_barrier_signal -1
	s_barrier_wait -1
	global_inv scope:SCOPE_SE
	ds_load_u16 v37, v21
	ds_load_u16 v38, v5 offset:320
	ds_load_u16 v43, v5 offset:640
	;; [unrolled: 1-line block ×9, first 2 shown]
	v_lshrrev_b32_e32 v21, 16, v15
	s_and_saveexec_b32 s1, s0
	s_cbranch_execz .LBB0_21
; %bb.20:
	ds_load_u16 v3, v5 offset:200
	ds_load_u16 v23, v5 offset:520
	;; [unrolled: 1-line block ×10, first 2 shown]
.LBB0_21:
	s_wait_alu 0xfffe
	s_or_b32 exec_lo, exec_lo, s1
	s_and_saveexec_b32 s1, vcc_lo
	s_cbranch_execz .LBB0_24
; %bb.22:
	v_mul_u32_u24_e32 v0, 9, v4
	v_add_co_u32 v6, vcc_lo, s8, v6
	s_wait_alu 0xfffd
	v_add_co_ci_u32_e32 v7, vcc_lo, s9, v7, vcc_lo
	s_delay_alu instid0(VALU_DEP_3)
	v_dual_mov_b32 v5, 0 :: v_dual_lshlrev_b32 v0, 2, v0
	s_clause 0x2
	global_load_b128 v[47:50], v0, s[4:5] offset:600
	global_load_b128 v[51:54], v0, s[4:5] offset:616
	global_load_b32 v55, v0, s[4:5] offset:632
	v_lshlrev_b64_e32 v[0:1], 2, v[4:5]
	s_delay_alu instid0(VALU_DEP_1) | instskip(SKIP_1) | instid1(VALU_DEP_2)
	v_add_co_u32 v0, vcc_lo, v6, v0
	s_wait_alu 0xfffd
	v_add_co_ci_u32_e32 v1, vcc_lo, v7, v1, vcc_lo
	s_wait_loadcnt 0x2
	v_lshrrev_b32_e32 v56, 16, v49
	s_wait_loadcnt 0x1
	v_lshrrev_b32_e32 v58, 16, v51
	v_lshrrev_b32_e32 v60, 16, v53
	;; [unrolled: 1-line block ×3, first 2 shown]
	s_wait_loadcnt 0x0
	v_lshrrev_b32_e32 v64, 16, v55
	v_lshrrev_b32_e32 v6, 16, v47
	;; [unrolled: 1-line block ×5, first 2 shown]
	v_mul_f16_e32 v62, v33, v49
	v_mul_f16_e32 v63, v34, v51
	;; [unrolled: 1-line block ×6, first 2 shown]
	s_wait_dscnt 0x1
	v_mul_f16_e32 v61, v46, v61
	v_mul_f16_e32 v33, v33, v56
	;; [unrolled: 1-line block ×11, first 2 shown]
	v_fmac_f16_e32 v62, v39, v56
	v_fmac_f16_e32 v63, v40, v58
	s_wait_dscnt 0x0
	v_fmac_f16_e32 v65, v42, v64
	v_fmac_f16_e32 v66, v41, v60
	v_fmac_f16_e32 v67, v38, v6
	v_mul_f16_e32 v6, v31, v6
	v_fmac_f16_e32 v61, v32, v54
	v_fma_f16 v32, v39, v49, -v33
	v_fma_f16 v33, v42, v55, -v36
	;; [unrolled: 1-line block ×8, first 2 shown]
	v_fmac_f16_e32 v7, v28, v48
	v_fmac_f16_e32 v57, v29, v50
	;; [unrolled: 1-line block ×3, first 2 shown]
	v_sub_f16_e32 v28, v62, v63
	v_sub_f16_e32 v29, v65, v66
	v_add_f16_e32 v30, v63, v66
	v_fma_f16 v6, v38, v47, -v6
	v_sub_f16_e32 v36, v62, v65
	v_sub_f16_e32 v39, v63, v62
	;; [unrolled: 1-line block ×3, first 2 shown]
	v_add_f16_e32 v41, v62, v65
	v_add_f16_e32 v42, v62, v67
	v_sub_f16_e32 v52, v32, v34
	v_sub_f16_e32 v53, v33, v35
	v_add_f16_e32 v54, v34, v35
	v_add_f16_e32 v62, v32, v33
	v_sub_f16_e32 v38, v63, v66
	v_add_f16_e32 v28, v28, v29
	v_fma_f16 v29, -0.5, v30, v67
	v_sub_f16_e32 v30, v32, v33
	v_sub_f16_e32 v55, v43, v31
	;; [unrolled: 1-line block ×3, first 2 shown]
	v_add_f16_e32 v39, v39, v40
	v_fma_f16 v40, -0.5, v41, v67
	v_sub_f16_e32 v41, v34, v32
	v_sub_f16_e32 v60, v35, v33
	v_add_f16_e32 v32, v32, v6
	v_add_f16_e32 v69, v57, v59
	;; [unrolled: 1-line block ×3, first 2 shown]
	v_fma_f16 v53, -0.5, v54, v6
	v_fma_f16 v6, -0.5, v62, v6
	v_sub_f16_e32 v46, v31, v43
	v_sub_f16_e32 v47, v44, v45
	v_add_f16_e32 v48, v43, v45
	v_sub_f16_e32 v51, v34, v35
	v_add_f16_e32 v64, v37, v31
	;; [unrolled: 2-line block ×3, first 2 shown]
	v_sub_f16_e32 v67, v7, v57
	v_sub_f16_e32 v31, v31, v44
	v_sub_f16_e32 v71, v57, v7
	v_add_f16_e32 v73, v7, v61
	v_add_f16_e32 v7, v27, v7
	;; [unrolled: 1-line block ×6, first 2 shown]
	v_fma_f16 v56, -0.5, v69, v27
	v_fmamk_f16 v60, v36, 0xbb9c, v53
	v_fmamk_f16 v63, v38, 0x3b9c, v6
	v_fmac_f16_e32 v6, 0xbb9c, v38
	v_fmac_f16_e32 v53, 0x3b9c, v36
	v_sub_f16_e32 v70, v43, v45
	v_add_f16_e32 v46, v46, v47
	v_fma_f16 v47, -0.5, v48, v37
	v_fmamk_f16 v48, v30, 0x3b9c, v29
	v_fmamk_f16 v55, v51, 0xbb9c, v40
	v_fmac_f16_e32 v40, 0x3b9c, v51
	v_fmac_f16_e32 v29, 0xbb9c, v30
	v_add_f16_e32 v43, v64, v43
	v_sub_f16_e32 v50, v57, v59
	v_sub_f16_e32 v68, v61, v59
	v_fma_f16 v37, -0.5, v58, v37
	v_add_f16_e32 v7, v7, v57
	v_add_f16_e32 v32, v35, v32
	v_fmamk_f16 v35, v31, 0x3b9c, v56
	v_fmac_f16_e32 v56, 0xbb9c, v31
	v_fmac_f16_e32 v6, 0x38b4, v36
	;; [unrolled: 1-line block ×3, first 2 shown]
	v_fma_f16 v27, -0.5, v73, v27
	v_fmac_f16_e32 v63, 0xb8b4, v36
	v_fmac_f16_e32 v48, 0x38b4, v51
	;; [unrolled: 1-line block ×5, first 2 shown]
	v_add_f16_e32 v30, v43, v45
	v_fmac_f16_e32 v60, 0xb8b4, v38
	v_add_f16_e32 v34, v67, v68
	v_add_f16_e32 v42, v66, v42
	v_fmamk_f16 v57, v49, 0xbb9c, v47
	v_fmamk_f16 v62, v50, 0x3b9c, v37
	v_fmac_f16_e32 v37, 0xbb9c, v50
	v_fmac_f16_e32 v47, 0x3b9c, v49
	v_add_f16_e32 v7, v7, v59
	v_fmac_f16_e32 v35, 0x38b4, v70
	v_fmac_f16_e32 v56, 0xb8b4, v70
	;; [unrolled: 1-line block ×4, first 2 shown]
	v_sub_f16_e32 v72, v59, v61
	v_fmamk_f16 v43, v70, 0xbb9c, v27
	v_fmac_f16_e32 v27, 0x3b9c, v70
	v_fmac_f16_e32 v63, 0x34f2, v41
	;; [unrolled: 1-line block ×4, first 2 shown]
	v_add_f16_e32 v28, v44, v30
	v_add_f16_e32 v30, v33, v32
	v_fmac_f16_e32 v60, 0x34f2, v52
	v_add_f16_e32 v42, v65, v42
	v_fmac_f16_e32 v37, 0x38b4, v49
	v_fmac_f16_e32 v40, 0x34f2, v39
	;; [unrolled: 1-line block ×3, first 2 shown]
	v_add_f16_e32 v7, v61, v7
	v_fmac_f16_e32 v35, 0x34f2, v34
	v_fmac_f16_e32 v56, 0x34f2, v34
	v_mul_f16_e32 v34, 0x34f2, v6
	v_mul_f16_e32 v36, 0x3a79, v53
	;; [unrolled: 1-line block ×3, first 2 shown]
	v_add_f16_e32 v58, v71, v72
	v_fmac_f16_e32 v27, 0xb8b4, v31
	v_mul_f16_e32 v6, 0xbb9c, v6
	v_fmac_f16_e32 v62, 0xb8b4, v49
	v_fmac_f16_e32 v55, 0x34f2, v39
	;; [unrolled: 1-line block ×3, first 2 shown]
	v_mul_f16_e32 v33, 0xb4f2, v63
	v_mul_f16_e32 v39, 0xbb9c, v63
	v_fmac_f16_e32 v57, 0xb8b4, v50
	v_sub_f16_e32 v31, v28, v30
	v_add_f16_e32 v28, v28, v30
	v_mul_f16_e32 v30, 0xba79, v60
	v_mul_f16_e32 v38, 0xb8b4, v60
	v_fmac_f16_e32 v37, 0x34f2, v54
	v_fmac_f16_e32 v47, 0x34f2, v46
	v_sub_f16_e32 v32, v7, v42
	v_add_f16_e32 v7, v7, v42
	v_fmac_f16_e32 v34, 0x3b9c, v40
	v_fmac_f16_e32 v36, 0x38b4, v29
	;; [unrolled: 1-line block ×12, first 2 shown]
	v_pack_b32_f16 v7, v7, v28
	v_pack_b32_f16 v28, v32, v31
	v_sub_f16_e32 v32, v37, v34
	v_sub_f16_e32 v40, v47, v36
	v_add_f16_e32 v34, v37, v34
	v_add_f16_e32 v36, v47, v36
	;; [unrolled: 1-line block ×3, first 2 shown]
	v_sub_f16_e32 v45, v27, v6
	v_add_f16_e32 v6, v27, v6
	v_sub_f16_e32 v31, v62, v33
	v_add_f16_e32 v33, v62, v33
	v_add_f16_e32 v27, v43, v39
	v_sub_f16_e32 v29, v57, v30
	v_sub_f16_e32 v42, v35, v38
	v_add_f16_e32 v30, v57, v30
	v_add_f16_e32 v35, v35, v38
	v_sub_f16_e32 v44, v43, v39
	v_sub_f16_e32 v38, v56, v41
	v_pack_b32_f16 v36, v37, v36
	v_pack_b32_f16 v6, v6, v34
	;; [unrolled: 1-line block ×8, first 2 shown]
	s_clause 0x9
	global_store_b32 v[0:1], v7, off
	global_store_b32 v[0:1], v36, off offset:640
	global_store_b32 v[0:1], v6, off offset:1280
	;; [unrolled: 1-line block ×9, first 2 shown]
	s_and_b32 exec_lo, exec_lo, s0
	s_cbranch_execz .LBB0_24
; %bb.23:
	v_subrev_nc_u32_e32 v4, 60, v4
	s_delay_alu instid0(VALU_DEP_1) | instskip(NEXT) | instid1(VALU_DEP_1)
	v_cndmask_b32_e64 v4, v4, v12, s0
	v_mul_i32_i24_e32 v4, 9, v4
	s_delay_alu instid0(VALU_DEP_1) | instskip(NEXT) | instid1(VALU_DEP_1)
	v_lshlrev_b64_e32 v[4:5], 2, v[4:5]
	v_add_co_u32 v31, vcc_lo, s4, v4
	s_wait_alu 0xfffd
	s_delay_alu instid0(VALU_DEP_2)
	v_add_co_ci_u32_e32 v32, vcc_lo, s5, v5, vcc_lo
	s_clause 0x2
	global_load_b128 v[4:7], v[31:32], off offset:600
	global_load_b128 v[27:30], v[31:32], off offset:616
	global_load_b32 v12, v[31:32], off offset:632
	s_wait_loadcnt 0x2
	v_lshrrev_b32_e32 v31, 16, v4
	v_lshrrev_b32_e32 v32, 16, v5
	;; [unrolled: 1-line block ×4, first 2 shown]
	s_wait_loadcnt 0x1
	v_lshrrev_b32_e32 v35, 16, v27
	v_lshrrev_b32_e32 v36, 16, v28
	;; [unrolled: 1-line block ×4, first 2 shown]
	s_wait_loadcnt 0x0
	v_lshrrev_b32_e32 v39, 16, v12
	v_mul_f16_e32 v40, v23, v31
	v_mul_f16_e32 v31, v18, v31
	;; [unrolled: 1-line block ×18, first 2 shown]
	v_fmac_f16_e32 v40, v18, v4
	v_fma_f16 v4, v23, v4, -v31
	v_fmac_f16_e32 v41, v19, v5
	v_fma_f16 v5, v24, v5, -v32
	;; [unrolled: 2-line block ×4, first 2 shown]
	v_fma_f16 v16, v22, v27, -v35
	v_fmac_f16_e32 v45, v9, v28
	v_fma_f16 v9, v15, v28, -v36
	v_fmac_f16_e32 v46, v8, v29
	;; [unrolled: 2-line block ×5, first 2 shown]
	v_add_f16_e32 v12, v2, v41
	v_sub_f16_e32 v17, v41, v43
	v_sub_f16_e32 v18, v47, v45
	v_add_f16_e32 v19, v41, v47
	v_sub_f16_e32 v20, v43, v41
	v_sub_f16_e32 v21, v45, v47
	;; [unrolled: 1-line block ×5, first 2 shown]
	v_add_f16_e32 v39, v4, v6
	v_add_f16_e32 v41, v16, v8
	v_add_f16_e32 v52, v6, v11
	v_add_f16_e32 v22, v3, v5
	v_add_f16_e32 v30, v40, v42
	v_add_f16_e32 v31, v44, v46
	v_sub_f16_e32 v32, v6, v11
	v_sub_f16_e32 v33, v16, v8
	;; [unrolled: 1-line block ×3, first 2 shown]
	v_add_f16_e32 v36, v42, v48
	v_sub_f16_e32 v37, v44, v42
	v_sub_f16_e32 v42, v42, v48
	;; [unrolled: 1-line block ×4, first 2 shown]
	v_add_f16_e32 v17, v17, v18
	v_add_f16_e32 v18, v20, v21
	;; [unrolled: 1-line block ×4, first 2 shown]
	v_fma_f16 v27, -0.5, v41, v4
	v_sub_f16_e32 v49, v44, v46
	v_fmac_f16_e32 v4, -0.5, v52
	v_add_f16_e32 v13, v43, v45
	v_add_f16_e32 v23, v7, v9
	;; [unrolled: 1-line block ×3, first 2 shown]
	v_sub_f16_e32 v14, v5, v10
	v_sub_f16_e32 v15, v7, v9
	;; [unrolled: 1-line block ×6, first 2 shown]
	v_add_f16_e32 v7, v22, v7
	v_fma_f16 v22, -0.5, v31, v40
	v_add_f16_e32 v8, v16, v8
	v_fmamk_f16 v16, v42, 0x3b9c, v27
	v_fmac_f16_e32 v40, -0.5, v36
	v_fmamk_f16 v36, v49, 0xbb9c, v4
	v_sub_f16_e32 v25, v43, v45
	v_add_f16_e32 v12, v12, v43
	v_fma_f16 v13, -0.5, v13, v2
	v_fmac_f16_e32 v2, -0.5, v19
	v_fma_f16 v19, -0.5, v23, v3
	v_fmac_f16_e32 v3, -0.5, v28
	v_add_f16_e32 v21, v30, v44
	v_fmac_f16_e32 v4, 0x3b9c, v49
	v_sub_f16_e32 v29, v9, v10
	v_fmac_f16_e32 v27, 0xbb9c, v42
	v_add_f16_e32 v23, v34, v35
	v_add_f16_e32 v28, v50, v51
	;; [unrolled: 1-line block ×3, first 2 shown]
	v_fmamk_f16 v34, v32, 0xbb9c, v22
	v_fmac_f16_e32 v16, 0x38b4, v49
	v_sub_f16_e32 v38, v46, v48
	v_add_f16_e32 v6, v6, v53
	v_fmamk_f16 v35, v33, 0x3b9c, v40
	v_fmac_f16_e32 v36, 0x38b4, v42
	v_add_f16_e32 v12, v12, v45
	v_fmamk_f16 v31, v25, 0xbb9c, v3
	v_fmac_f16_e32 v3, 0x3b9c, v25
	v_add_f16_e32 v21, v21, v46
	v_fmac_f16_e32 v40, 0xbb9c, v33
	v_fmac_f16_e32 v4, 0xb8b4, v42
	v_add_f16_e32 v5, v5, v29
	v_fmamk_f16 v29, v14, 0xbb9c, v13
	v_fmac_f16_e32 v13, 0x3b9c, v14
	v_fmac_f16_e32 v22, 0x3b9c, v32
	;; [unrolled: 1-line block ×3, first 2 shown]
	v_fmamk_f16 v9, v24, 0x3b9c, v19
	v_add_f16_e32 v7, v7, v10
	v_fmac_f16_e32 v34, 0xb8b4, v33
	v_add_f16_e32 v8, v8, v11
	v_fmac_f16_e32 v16, 0x34f2, v28
	v_add_f16_e32 v26, v37, v38
	v_fmamk_f16 v30, v15, 0x3b9c, v2
	v_fmac_f16_e32 v35, 0xb8b4, v32
	v_fmac_f16_e32 v36, 0x34f2, v6
	;; [unrolled: 1-line block ×3, first 2 shown]
	v_add_f16_e32 v12, v12, v47
	v_fmac_f16_e32 v31, 0x38b4, v24
	v_fmac_f16_e32 v3, 0xb8b4, v24
	v_add_f16_e32 v10, v21, v48
	v_fmac_f16_e32 v40, 0x38b4, v32
	v_fmac_f16_e32 v4, 0x34f2, v6
	;; [unrolled: 1-line block ×9, first 2 shown]
	v_add_f16_e32 v6, v7, v8
	v_sub_f16_e32 v7, v7, v8
	v_mul_f16_e32 v8, 0xb8b4, v16
	v_mul_f16_e32 v15, 0x3a79, v16
	v_fmac_f16_e32 v30, 0xb8b4, v14
	v_fmac_f16_e32 v35, 0x34f2, v26
	v_mul_f16_e32 v11, 0xbb9c, v36
	v_mul_f16_e32 v16, 0x34f2, v36
	v_fmac_f16_e32 v2, 0x38b4, v14
	v_fmac_f16_e32 v31, 0x34f2, v5
	;; [unrolled: 1-line block ×4, first 2 shown]
	v_add_f16_e32 v5, v12, v10
	v_sub_f16_e32 v10, v12, v10
	v_mul_f16_e32 v12, 0xbb9c, v4
	v_mul_f16_e32 v4, 0xb4f2, v4
	v_fmac_f16_e32 v19, 0xb8b4, v25
	v_fmac_f16_e32 v29, 0x34f2, v17
	;; [unrolled: 1-line block ×4, first 2 shown]
	v_mul_f16_e32 v14, 0xb8b4, v27
	v_mul_f16_e32 v17, 0xba79, v27
	v_fmac_f16_e32 v9, 0x34f2, v20
	v_fmac_f16_e32 v8, 0x3a79, v34
	;; [unrolled: 1-line block ×12, first 2 shown]
	v_pack_b32_f16 v5, v5, v6
	v_pack_b32_f16 v6, v10, v7
	v_add_f16_e32 v7, v29, v8
	v_add_f16_e32 v21, v9, v15
	;; [unrolled: 1-line block ×8, first 2 shown]
	v_sub_f16_e32 v8, v29, v8
	v_sub_f16_e32 v11, v30, v11
	;; [unrolled: 1-line block ×8, first 2 shown]
	v_pack_b32_f16 v7, v7, v21
	v_pack_b32_f16 v10, v10, v22
	;; [unrolled: 1-line block ×8, first 2 shown]
	s_clause 0x9
	global_store_b32 v[0:1], v5, off offset:400
	global_store_b32 v[0:1], v7, off offset:1040
	;; [unrolled: 1-line block ×10, first 2 shown]
.LBB0_24:
	s_nop 0
	s_sendmsg sendmsg(MSG_DEALLOC_VGPRS)
	s_endpgm
	.section	.rodata,"a",@progbits
	.p2align	6, 0x0
	.amdhsa_kernel fft_rtc_back_len1600_factors_10_16_10_wgs_200_tpt_100_halfLds_half_ip_CI_unitstride_sbrr_dirReg
		.amdhsa_group_segment_fixed_size 0
		.amdhsa_private_segment_fixed_size 0
		.amdhsa_kernarg_size 88
		.amdhsa_user_sgpr_count 2
		.amdhsa_user_sgpr_dispatch_ptr 0
		.amdhsa_user_sgpr_queue_ptr 0
		.amdhsa_user_sgpr_kernarg_segment_ptr 1
		.amdhsa_user_sgpr_dispatch_id 0
		.amdhsa_user_sgpr_private_segment_size 0
		.amdhsa_wavefront_size32 1
		.amdhsa_uses_dynamic_stack 0
		.amdhsa_enable_private_segment 0
		.amdhsa_system_sgpr_workgroup_id_x 1
		.amdhsa_system_sgpr_workgroup_id_y 0
		.amdhsa_system_sgpr_workgroup_id_z 0
		.amdhsa_system_sgpr_workgroup_info 0
		.amdhsa_system_vgpr_workitem_id 0
		.amdhsa_next_free_vgpr 91
		.amdhsa_next_free_sgpr 32
		.amdhsa_reserve_vcc 1
		.amdhsa_float_round_mode_32 0
		.amdhsa_float_round_mode_16_64 0
		.amdhsa_float_denorm_mode_32 3
		.amdhsa_float_denorm_mode_16_64 3
		.amdhsa_fp16_overflow 0
		.amdhsa_workgroup_processor_mode 1
		.amdhsa_memory_ordered 1
		.amdhsa_forward_progress 0
		.amdhsa_round_robin_scheduling 0
		.amdhsa_exception_fp_ieee_invalid_op 0
		.amdhsa_exception_fp_denorm_src 0
		.amdhsa_exception_fp_ieee_div_zero 0
		.amdhsa_exception_fp_ieee_overflow 0
		.amdhsa_exception_fp_ieee_underflow 0
		.amdhsa_exception_fp_ieee_inexact 0
		.amdhsa_exception_int_div_zero 0
	.end_amdhsa_kernel
	.text
.Lfunc_end0:
	.size	fft_rtc_back_len1600_factors_10_16_10_wgs_200_tpt_100_halfLds_half_ip_CI_unitstride_sbrr_dirReg, .Lfunc_end0-fft_rtc_back_len1600_factors_10_16_10_wgs_200_tpt_100_halfLds_half_ip_CI_unitstride_sbrr_dirReg
                                        ; -- End function
	.section	.AMDGPU.csdata,"",@progbits
; Kernel info:
; codeLenInByte = 9892
; NumSgprs: 34
; NumVgprs: 91
; ScratchSize: 0
; MemoryBound: 0
; FloatMode: 240
; IeeeMode: 1
; LDSByteSize: 0 bytes/workgroup (compile time only)
; SGPRBlocks: 4
; VGPRBlocks: 11
; NumSGPRsForWavesPerEU: 34
; NumVGPRsForWavesPerEU: 91
; Occupancy: 16
; WaveLimiterHint : 1
; COMPUTE_PGM_RSRC2:SCRATCH_EN: 0
; COMPUTE_PGM_RSRC2:USER_SGPR: 2
; COMPUTE_PGM_RSRC2:TRAP_HANDLER: 0
; COMPUTE_PGM_RSRC2:TGID_X_EN: 1
; COMPUTE_PGM_RSRC2:TGID_Y_EN: 0
; COMPUTE_PGM_RSRC2:TGID_Z_EN: 0
; COMPUTE_PGM_RSRC2:TIDIG_COMP_CNT: 0
	.text
	.p2alignl 7, 3214868480
	.fill 96, 4, 3214868480
	.type	__hip_cuid_d98878023298c78e,@object ; @__hip_cuid_d98878023298c78e
	.section	.bss,"aw",@nobits
	.globl	__hip_cuid_d98878023298c78e
__hip_cuid_d98878023298c78e:
	.byte	0                               ; 0x0
	.size	__hip_cuid_d98878023298c78e, 1

	.ident	"AMD clang version 19.0.0git (https://github.com/RadeonOpenCompute/llvm-project roc-6.4.0 25133 c7fe45cf4b819c5991fe208aaa96edf142730f1d)"
	.section	".note.GNU-stack","",@progbits
	.addrsig
	.addrsig_sym __hip_cuid_d98878023298c78e
	.amdgpu_metadata
---
amdhsa.kernels:
  - .args:
      - .actual_access:  read_only
        .address_space:  global
        .offset:         0
        .size:           8
        .value_kind:     global_buffer
      - .offset:         8
        .size:           8
        .value_kind:     by_value
      - .actual_access:  read_only
        .address_space:  global
        .offset:         16
        .size:           8
        .value_kind:     global_buffer
      - .actual_access:  read_only
        .address_space:  global
        .offset:         24
        .size:           8
        .value_kind:     global_buffer
      - .offset:         32
        .size:           8
        .value_kind:     by_value
      - .actual_access:  read_only
        .address_space:  global
        .offset:         40
        .size:           8
        .value_kind:     global_buffer
      - .actual_access:  read_only
        .address_space:  global
        .offset:         48
        .size:           8
        .value_kind:     global_buffer
      - .offset:         56
        .size:           4
        .value_kind:     by_value
      - .actual_access:  read_only
        .address_space:  global
        .offset:         64
        .size:           8
        .value_kind:     global_buffer
      - .actual_access:  read_only
        .address_space:  global
        .offset:         72
        .size:           8
        .value_kind:     global_buffer
      - .address_space:  global
        .offset:         80
        .size:           8
        .value_kind:     global_buffer
    .group_segment_fixed_size: 0
    .kernarg_segment_align: 8
    .kernarg_segment_size: 88
    .language:       OpenCL C
    .language_version:
      - 2
      - 0
    .max_flat_workgroup_size: 200
    .name:           fft_rtc_back_len1600_factors_10_16_10_wgs_200_tpt_100_halfLds_half_ip_CI_unitstride_sbrr_dirReg
    .private_segment_fixed_size: 0
    .sgpr_count:     34
    .sgpr_spill_count: 0
    .symbol:         fft_rtc_back_len1600_factors_10_16_10_wgs_200_tpt_100_halfLds_half_ip_CI_unitstride_sbrr_dirReg.kd
    .uniform_work_group_size: 1
    .uses_dynamic_stack: false
    .vgpr_count:     91
    .vgpr_spill_count: 0
    .wavefront_size: 32
    .workgroup_processor_mode: 1
amdhsa.target:   amdgcn-amd-amdhsa--gfx1201
amdhsa.version:
  - 1
  - 2
...

	.end_amdgpu_metadata
